;; amdgpu-corpus repo=ROCm/rocFFT kind=compiled arch=gfx1100 opt=O3
	.text
	.amdgcn_target "amdgcn-amd-amdhsa--gfx1100"
	.amdhsa_code_object_version 6
	.protected	fft_rtc_fwd_len288_factors_6_6_4_2_wgs_120_tpt_24_halfLds_dp_ip_CI_unitstride_sbrr_dirReg ; -- Begin function fft_rtc_fwd_len288_factors_6_6_4_2_wgs_120_tpt_24_halfLds_dp_ip_CI_unitstride_sbrr_dirReg
	.globl	fft_rtc_fwd_len288_factors_6_6_4_2_wgs_120_tpt_24_halfLds_dp_ip_CI_unitstride_sbrr_dirReg
	.p2align	8
	.type	fft_rtc_fwd_len288_factors_6_6_4_2_wgs_120_tpt_24_halfLds_dp_ip_CI_unitstride_sbrr_dirReg,@function
fft_rtc_fwd_len288_factors_6_6_4_2_wgs_120_tpt_24_halfLds_dp_ip_CI_unitstride_sbrr_dirReg: ; @fft_rtc_fwd_len288_factors_6_6_4_2_wgs_120_tpt_24_halfLds_dp_ip_CI_unitstride_sbrr_dirReg
; %bb.0:
	s_load_b128 s[4:7], s[0:1], 0x0
	v_mul_u32_u24_e32 v1, 0xaab, v0
	s_clause 0x1
	s_load_b64 s[8:9], s[0:1], 0x50
	s_load_b64 s[10:11], s[0:1], 0x18
	s_delay_alu instid0(VALU_DEP_1) | instskip(SKIP_1) | instid1(VALU_DEP_2)
	v_lshrrev_b32_e32 v2, 16, v1
	v_mov_b32_e32 v1, 0
	v_mad_u64_u32 v[53:54], null, s15, 5, v[2:3]
	v_mov_b32_e32 v3, 0
	v_mov_b32_e32 v4, 0
	s_delay_alu instid0(VALU_DEP_4) | instskip(NEXT) | instid1(VALU_DEP_1)
	v_mov_b32_e32 v54, v1
	v_dual_mov_b32 v7, v53 :: v_dual_mov_b32 v8, v54
	s_waitcnt lgkmcnt(0)
	v_cmp_lt_u64_e64 s2, s[6:7], 2
	s_delay_alu instid0(VALU_DEP_1)
	s_and_b32 vcc_lo, exec_lo, s2
	s_cbranch_vccnz .LBB0_8
; %bb.1:
	s_load_b64 s[2:3], s[0:1], 0x10
	v_mov_b32_e32 v3, 0
	v_dual_mov_b32 v4, 0 :: v_dual_mov_b32 v5, v53
	s_add_u32 s12, s10, 8
	v_mov_b32_e32 v6, v54
	s_addc_u32 s13, s11, 0
	s_mov_b64 s[16:17], 1
	s_waitcnt lgkmcnt(0)
	s_add_u32 s14, s2, 8
	s_addc_u32 s15, s3, 0
.LBB0_2:                                ; =>This Inner Loop Header: Depth=1
	s_load_b64 s[18:19], s[14:15], 0x0
                                        ; implicit-def: $vgpr7_vgpr8
	s_mov_b32 s2, exec_lo
	s_waitcnt lgkmcnt(0)
	v_or_b32_e32 v2, s19, v6
	s_delay_alu instid0(VALU_DEP_1)
	v_cmpx_ne_u64_e32 0, v[1:2]
	s_xor_b32 s3, exec_lo, s2
	s_cbranch_execz .LBB0_4
; %bb.3:                                ;   in Loop: Header=BB0_2 Depth=1
	v_cvt_f32_u32_e32 v2, s18
	v_cvt_f32_u32_e32 v7, s19
	s_sub_u32 s2, 0, s18
	s_subb_u32 s20, 0, s19
	s_delay_alu instid0(VALU_DEP_1) | instskip(NEXT) | instid1(VALU_DEP_1)
	v_fmac_f32_e32 v2, 0x4f800000, v7
	v_rcp_f32_e32 v2, v2
	s_waitcnt_depctr 0xfff
	v_mul_f32_e32 v2, 0x5f7ffffc, v2
	s_delay_alu instid0(VALU_DEP_1) | instskip(NEXT) | instid1(VALU_DEP_1)
	v_mul_f32_e32 v7, 0x2f800000, v2
	v_trunc_f32_e32 v7, v7
	s_delay_alu instid0(VALU_DEP_1) | instskip(SKIP_1) | instid1(VALU_DEP_2)
	v_fmac_f32_e32 v2, 0xcf800000, v7
	v_cvt_u32_f32_e32 v7, v7
	v_cvt_u32_f32_e32 v2, v2
	s_delay_alu instid0(VALU_DEP_2) | instskip(NEXT) | instid1(VALU_DEP_2)
	v_mul_lo_u32 v8, s2, v7
	v_mul_hi_u32 v9, s2, v2
	v_mul_lo_u32 v10, s20, v2
	s_delay_alu instid0(VALU_DEP_2) | instskip(SKIP_1) | instid1(VALU_DEP_2)
	v_add_nc_u32_e32 v8, v9, v8
	v_mul_lo_u32 v9, s2, v2
	v_add_nc_u32_e32 v8, v8, v10
	s_delay_alu instid0(VALU_DEP_2) | instskip(NEXT) | instid1(VALU_DEP_2)
	v_mul_hi_u32 v10, v2, v9
	v_mul_lo_u32 v11, v2, v8
	v_mul_hi_u32 v12, v2, v8
	v_mul_hi_u32 v13, v7, v9
	v_mul_lo_u32 v9, v7, v9
	v_mul_hi_u32 v14, v7, v8
	v_mul_lo_u32 v8, v7, v8
	v_add_co_u32 v10, vcc_lo, v10, v11
	v_add_co_ci_u32_e32 v11, vcc_lo, 0, v12, vcc_lo
	s_delay_alu instid0(VALU_DEP_2) | instskip(NEXT) | instid1(VALU_DEP_2)
	v_add_co_u32 v9, vcc_lo, v10, v9
	v_add_co_ci_u32_e32 v9, vcc_lo, v11, v13, vcc_lo
	v_add_co_ci_u32_e32 v10, vcc_lo, 0, v14, vcc_lo
	s_delay_alu instid0(VALU_DEP_2) | instskip(NEXT) | instid1(VALU_DEP_2)
	v_add_co_u32 v8, vcc_lo, v9, v8
	v_add_co_ci_u32_e32 v9, vcc_lo, 0, v10, vcc_lo
	s_delay_alu instid0(VALU_DEP_2) | instskip(NEXT) | instid1(VALU_DEP_2)
	v_add_co_u32 v2, vcc_lo, v2, v8
	v_add_co_ci_u32_e32 v7, vcc_lo, v7, v9, vcc_lo
	s_delay_alu instid0(VALU_DEP_2) | instskip(SKIP_1) | instid1(VALU_DEP_3)
	v_mul_hi_u32 v8, s2, v2
	v_mul_lo_u32 v10, s20, v2
	v_mul_lo_u32 v9, s2, v7
	s_delay_alu instid0(VALU_DEP_1) | instskip(SKIP_1) | instid1(VALU_DEP_2)
	v_add_nc_u32_e32 v8, v8, v9
	v_mul_lo_u32 v9, s2, v2
	v_add_nc_u32_e32 v8, v8, v10
	s_delay_alu instid0(VALU_DEP_2) | instskip(NEXT) | instid1(VALU_DEP_2)
	v_mul_hi_u32 v10, v2, v9
	v_mul_lo_u32 v11, v2, v8
	v_mul_hi_u32 v12, v2, v8
	v_mul_hi_u32 v13, v7, v9
	v_mul_lo_u32 v9, v7, v9
	v_mul_hi_u32 v14, v7, v8
	v_mul_lo_u32 v8, v7, v8
	v_add_co_u32 v10, vcc_lo, v10, v11
	v_add_co_ci_u32_e32 v11, vcc_lo, 0, v12, vcc_lo
	s_delay_alu instid0(VALU_DEP_2) | instskip(NEXT) | instid1(VALU_DEP_2)
	v_add_co_u32 v9, vcc_lo, v10, v9
	v_add_co_ci_u32_e32 v9, vcc_lo, v11, v13, vcc_lo
	v_add_co_ci_u32_e32 v10, vcc_lo, 0, v14, vcc_lo
	s_delay_alu instid0(VALU_DEP_2) | instskip(NEXT) | instid1(VALU_DEP_2)
	v_add_co_u32 v8, vcc_lo, v9, v8
	v_add_co_ci_u32_e32 v9, vcc_lo, 0, v10, vcc_lo
	s_delay_alu instid0(VALU_DEP_2) | instskip(NEXT) | instid1(VALU_DEP_2)
	v_add_co_u32 v2, vcc_lo, v2, v8
	v_add_co_ci_u32_e32 v13, vcc_lo, v7, v9, vcc_lo
	s_delay_alu instid0(VALU_DEP_2) | instskip(SKIP_1) | instid1(VALU_DEP_3)
	v_mul_hi_u32 v14, v5, v2
	v_mad_u64_u32 v[9:10], null, v6, v2, 0
	v_mad_u64_u32 v[7:8], null, v5, v13, 0
	;; [unrolled: 1-line block ×3, first 2 shown]
	s_delay_alu instid0(VALU_DEP_2) | instskip(NEXT) | instid1(VALU_DEP_3)
	v_add_co_u32 v2, vcc_lo, v14, v7
	v_add_co_ci_u32_e32 v7, vcc_lo, 0, v8, vcc_lo
	s_delay_alu instid0(VALU_DEP_2) | instskip(NEXT) | instid1(VALU_DEP_2)
	v_add_co_u32 v2, vcc_lo, v2, v9
	v_add_co_ci_u32_e32 v2, vcc_lo, v7, v10, vcc_lo
	v_add_co_ci_u32_e32 v7, vcc_lo, 0, v12, vcc_lo
	s_delay_alu instid0(VALU_DEP_2) | instskip(NEXT) | instid1(VALU_DEP_2)
	v_add_co_u32 v2, vcc_lo, v2, v11
	v_add_co_ci_u32_e32 v9, vcc_lo, 0, v7, vcc_lo
	s_delay_alu instid0(VALU_DEP_2) | instskip(SKIP_1) | instid1(VALU_DEP_3)
	v_mul_lo_u32 v10, s19, v2
	v_mad_u64_u32 v[7:8], null, s18, v2, 0
	v_mul_lo_u32 v11, s18, v9
	s_delay_alu instid0(VALU_DEP_2) | instskip(NEXT) | instid1(VALU_DEP_2)
	v_sub_co_u32 v7, vcc_lo, v5, v7
	v_add3_u32 v8, v8, v11, v10
	s_delay_alu instid0(VALU_DEP_1) | instskip(NEXT) | instid1(VALU_DEP_1)
	v_sub_nc_u32_e32 v10, v6, v8
	v_subrev_co_ci_u32_e64 v10, s2, s19, v10, vcc_lo
	v_add_co_u32 v11, s2, v2, 2
	s_delay_alu instid0(VALU_DEP_1) | instskip(SKIP_3) | instid1(VALU_DEP_3)
	v_add_co_ci_u32_e64 v12, s2, 0, v9, s2
	v_sub_co_u32 v13, s2, v7, s18
	v_sub_co_ci_u32_e32 v8, vcc_lo, v6, v8, vcc_lo
	v_subrev_co_ci_u32_e64 v10, s2, 0, v10, s2
	v_cmp_le_u32_e32 vcc_lo, s18, v13
	s_delay_alu instid0(VALU_DEP_3) | instskip(SKIP_1) | instid1(VALU_DEP_4)
	v_cmp_eq_u32_e64 s2, s19, v8
	v_cndmask_b32_e64 v13, 0, -1, vcc_lo
	v_cmp_le_u32_e32 vcc_lo, s19, v10
	v_cndmask_b32_e64 v14, 0, -1, vcc_lo
	v_cmp_le_u32_e32 vcc_lo, s18, v7
	;; [unrolled: 2-line block ×3, first 2 shown]
	v_cndmask_b32_e64 v15, 0, -1, vcc_lo
	v_cmp_eq_u32_e32 vcc_lo, s19, v10
	s_delay_alu instid0(VALU_DEP_2) | instskip(SKIP_3) | instid1(VALU_DEP_3)
	v_cndmask_b32_e64 v7, v15, v7, s2
	v_cndmask_b32_e32 v10, v14, v13, vcc_lo
	v_add_co_u32 v13, vcc_lo, v2, 1
	v_add_co_ci_u32_e32 v14, vcc_lo, 0, v9, vcc_lo
	v_cmp_ne_u32_e32 vcc_lo, 0, v10
	s_delay_alu instid0(VALU_DEP_2) | instskip(NEXT) | instid1(VALU_DEP_4)
	v_cndmask_b32_e32 v8, v14, v12, vcc_lo
	v_cndmask_b32_e32 v10, v13, v11, vcc_lo
	v_cmp_ne_u32_e32 vcc_lo, 0, v7
	s_delay_alu instid0(VALU_DEP_2)
	v_dual_cndmask_b32 v7, v2, v10 :: v_dual_cndmask_b32 v8, v9, v8
.LBB0_4:                                ;   in Loop: Header=BB0_2 Depth=1
	s_and_not1_saveexec_b32 s2, s3
	s_cbranch_execz .LBB0_6
; %bb.5:                                ;   in Loop: Header=BB0_2 Depth=1
	v_cvt_f32_u32_e32 v2, s18
	s_sub_i32 s3, 0, s18
	s_delay_alu instid0(VALU_DEP_1) | instskip(SKIP_2) | instid1(VALU_DEP_1)
	v_rcp_iflag_f32_e32 v2, v2
	s_waitcnt_depctr 0xfff
	v_mul_f32_e32 v2, 0x4f7ffffe, v2
	v_cvt_u32_f32_e32 v2, v2
	s_delay_alu instid0(VALU_DEP_1) | instskip(NEXT) | instid1(VALU_DEP_1)
	v_mul_lo_u32 v7, s3, v2
	v_mul_hi_u32 v7, v2, v7
	s_delay_alu instid0(VALU_DEP_1) | instskip(NEXT) | instid1(VALU_DEP_1)
	v_add_nc_u32_e32 v2, v2, v7
	v_mul_hi_u32 v2, v5, v2
	s_delay_alu instid0(VALU_DEP_1) | instskip(SKIP_1) | instid1(VALU_DEP_2)
	v_mul_lo_u32 v7, v2, s18
	v_add_nc_u32_e32 v8, 1, v2
	v_sub_nc_u32_e32 v7, v5, v7
	s_delay_alu instid0(VALU_DEP_1) | instskip(SKIP_1) | instid1(VALU_DEP_2)
	v_subrev_nc_u32_e32 v9, s18, v7
	v_cmp_le_u32_e32 vcc_lo, s18, v7
	v_dual_cndmask_b32 v7, v7, v9 :: v_dual_cndmask_b32 v2, v2, v8
	s_delay_alu instid0(VALU_DEP_1) | instskip(NEXT) | instid1(VALU_DEP_2)
	v_cmp_le_u32_e32 vcc_lo, s18, v7
	v_add_nc_u32_e32 v8, 1, v2
	s_delay_alu instid0(VALU_DEP_1)
	v_dual_cndmask_b32 v7, v2, v8 :: v_dual_mov_b32 v8, v1
.LBB0_6:                                ;   in Loop: Header=BB0_2 Depth=1
	s_or_b32 exec_lo, exec_lo, s2
	s_load_b64 s[2:3], s[12:13], 0x0
	s_delay_alu instid0(VALU_DEP_1) | instskip(NEXT) | instid1(VALU_DEP_2)
	v_mul_lo_u32 v2, v8, s18
	v_mul_lo_u32 v11, v7, s19
	v_mad_u64_u32 v[9:10], null, v7, s18, 0
	s_add_u32 s16, s16, 1
	s_addc_u32 s17, s17, 0
	s_add_u32 s12, s12, 8
	s_addc_u32 s13, s13, 0
	;; [unrolled: 2-line block ×3, first 2 shown]
	s_delay_alu instid0(VALU_DEP_1) | instskip(SKIP_1) | instid1(VALU_DEP_2)
	v_add3_u32 v2, v10, v11, v2
	v_sub_co_u32 v9, vcc_lo, v5, v9
	v_sub_co_ci_u32_e32 v2, vcc_lo, v6, v2, vcc_lo
	s_waitcnt lgkmcnt(0)
	s_delay_alu instid0(VALU_DEP_2) | instskip(NEXT) | instid1(VALU_DEP_2)
	v_mul_lo_u32 v10, s3, v9
	v_mul_lo_u32 v2, s2, v2
	v_mad_u64_u32 v[5:6], null, s2, v9, v[3:4]
	v_cmp_ge_u64_e64 s2, s[16:17], s[6:7]
	s_delay_alu instid0(VALU_DEP_1) | instskip(NEXT) | instid1(VALU_DEP_2)
	s_and_b32 vcc_lo, exec_lo, s2
	v_add3_u32 v4, v10, v6, v2
	s_delay_alu instid0(VALU_DEP_3)
	v_mov_b32_e32 v3, v5
	s_cbranch_vccnz .LBB0_8
; %bb.7:                                ;   in Loop: Header=BB0_2 Depth=1
	v_dual_mov_b32 v5, v7 :: v_dual_mov_b32 v6, v8
	s_branch .LBB0_2
.LBB0_8:
	s_lshl_b64 s[2:3], s[6:7], 3
	v_mul_hi_u32 v1, 0xaaaaaab, v0
	s_add_u32 s2, s10, s2
	s_addc_u32 s3, s11, s3
	s_load_b64 s[2:3], s[2:3], 0x0
	s_load_b64 s[0:1], s[0:1], 0x20
	s_delay_alu instid0(VALU_DEP_1) | instskip(NEXT) | instid1(VALU_DEP_1)
	v_mul_u32_u24_e32 v5, 24, v1
	v_sub_nc_u32_e32 v48, v0, v5
	s_delay_alu instid0(VALU_DEP_1)
	v_or_b32_e32 v52, 0x60, v48
	s_waitcnt lgkmcnt(0)
	v_mul_lo_u32 v6, s2, v8
	v_mul_lo_u32 v9, s3, v7
	v_mad_u64_u32 v[1:2], null, s2, v7, v[3:4]
	v_cmp_gt_u64_e32 vcc_lo, s[0:1], v[7:8]
	v_cmp_le_u64_e64 s0, s[0:1], v[7:8]
	s_delay_alu instid0(VALU_DEP_3) | instskip(NEXT) | instid1(VALU_DEP_2)
	v_add3_u32 v2, v9, v2, v6
	s_and_saveexec_b32 s1, s0
	s_delay_alu instid0(SALU_CYCLE_1)
	s_xor_b32 s0, exec_lo, s1
; %bb.9:
	v_or_b32_e32 v52, 0x60, v48
; %bb.10:
	s_or_saveexec_b32 s1, s0
	v_lshlrev_b64 v[50:51], 4, v[1:2]
                                        ; implicit-def: $vgpr30_vgpr31
                                        ; implicit-def: $vgpr26_vgpr27
                                        ; implicit-def: $vgpr2_vgpr3
                                        ; implicit-def: $vgpr22_vgpr23
                                        ; implicit-def: $vgpr42_vgpr43
                                        ; implicit-def: $vgpr6_vgpr7
                                        ; implicit-def: $vgpr10_vgpr11
                                        ; implicit-def: $vgpr38_vgpr39
                                        ; implicit-def: $vgpr34_vgpr35
                                        ; implicit-def: $vgpr14_vgpr15
                                        ; implicit-def: $vgpr46_vgpr47
                                        ; implicit-def: $vgpr18_vgpr19
	s_xor_b32 exec_lo, exec_lo, s1
; %bb.11:
	v_mov_b32_e32 v49, 0
	s_delay_alu instid0(VALU_DEP_2) | instskip(NEXT) | instid1(VALU_DEP_1)
	v_add_co_u32 v2, s0, s8, v50
	v_add_co_ci_u32_e64 v3, s0, s9, v51, s0
	s_delay_alu instid0(VALU_DEP_3) | instskip(NEXT) | instid1(VALU_DEP_1)
	v_lshlrev_b64 v[0:1], 4, v[48:49]
	v_add_co_u32 v0, s0, v2, v0
	s_delay_alu instid0(VALU_DEP_1)
	v_add_co_ci_u32_e64 v1, s0, v3, v1, s0
	s_clause 0x5
	global_load_b128 v[16:19], v[0:1], off
	global_load_b128 v[20:23], v[0:1], off offset:384
	global_load_b128 v[28:31], v[0:1], off offset:768
	;; [unrolled: 1-line block ×5, first 2 shown]
	v_add_co_u32 v8, s0, 0x1000, v0
	s_delay_alu instid0(VALU_DEP_1)
	v_add_co_ci_u32_e64 v9, s0, 0, v1, s0
	s_clause 0x5
	global_load_b128 v[44:47], v[0:1], off offset:2304
	global_load_b128 v[40:43], v[0:1], off offset:2688
	global_load_b128 v[12:15], v[0:1], off offset:3072
	global_load_b128 v[4:7], v[0:1], off offset:3456
	global_load_b128 v[0:3], v[0:1], off offset:3840
	global_load_b128 v[8:11], v[8:9], off offset:128
; %bb.12:
	s_or_b32 exec_lo, exec_lo, s1
	s_waitcnt vmcnt(1)
	v_add_f64 v[54:55], v[0:1], v[44:45]
	s_waitcnt vmcnt(0)
	v_add_f64 v[56:57], v[40:41], v[8:9]
	v_add_f64 v[58:59], v[2:3], v[46:47]
	;; [unrolled: 1-line block ×3, first 2 shown]
	v_add_f64 v[62:63], v[46:47], -v[2:3]
	v_add_f64 v[64:65], v[42:43], -v[10:11]
	;; [unrolled: 1-line block ×4, first 2 shown]
	s_mov_b32 s2, 0xe8584caa
	s_mov_b32 s3, 0x3febb67a
	;; [unrolled: 1-line block ×4, first 2 shown]
	v_add_f64 v[70:71], v[24:25], v[12:13]
	v_add_f64 v[78:79], v[6:7], v[38:39]
	;; [unrolled: 1-line block ×3, first 2 shown]
	v_add_f64 v[84:85], v[26:27], -v[14:15]
	v_add_f64 v[24:25], v[24:25], -v[12:13]
	v_mul_hi_u32 v49, 0xcccccccd, v53
	v_fma_f64 v[54:55], v[54:55], -0.5, v[28:29]
	v_fma_f64 v[56:57], v[56:57], -0.5, v[32:33]
	;; [unrolled: 1-line block ×4, first 2 shown]
	v_add_f64 v[28:29], v[28:29], v[44:45]
	v_add_f64 v[30:31], v[30:31], v[46:47]
	;; [unrolled: 1-line block ×5, first 2 shown]
	v_add_f64 v[46:47], v[38:39], -v[6:7]
	v_add_f64 v[38:39], v[22:23], v[38:39]
	v_fma_f64 v[16:17], v[70:71], -0.5, v[16:17]
	v_fma_f64 v[22:23], v[78:79], -0.5, v[22:23]
	v_add_f64 v[12:13], v[12:13], v[82:83]
	v_fma_f64 v[72:73], v[62:63], s[2:3], v[54:55]
	v_fma_f64 v[74:75], v[64:65], s[2:3], v[56:57]
	;; [unrolled: 1-line block ×3, first 2 shown]
	v_add_f64 v[64:65], v[26:27], v[14:15]
	v_fma_f64 v[54:55], v[62:63], s[0:1], v[54:55]
	v_fma_f64 v[76:77], v[66:67], s[2:3], v[58:59]
	v_add_f64 v[62:63], v[4:5], v[36:37]
	v_fma_f64 v[80:81], v[68:69], s[2:3], v[60:61]
	v_fma_f64 v[40:41], v[66:67], s[0:1], v[58:59]
	;; [unrolled: 1-line block ×3, first 2 shown]
	v_add_f64 v[26:27], v[26:27], v[18:19]
	v_add_f64 v[36:37], v[36:37], -v[4:5]
	v_add_f64 v[0:1], v[0:1], v[28:29]
	v_add_f64 v[28:29], v[4:5], v[44:45]
	;; [unrolled: 1-line block ×3, first 2 shown]
	v_fma_f64 v[32:33], v[84:85], s[2:3], v[16:17]
	v_fma_f64 v[16:17], v[84:85], s[0:1], v[16:17]
	v_add_f64 v[78:79], v[10:11], v[34:35]
	v_and_b32_e32 v4, 0xff, v48
	v_lshrrev_b32_e32 v5, 2, v49
	s_delay_alu instid0(VALU_DEP_2) | instskip(NEXT) | instid1(VALU_DEP_2)
	v_mul_lo_u16 v4, 0xab, v4
	v_lshl_add_u32 v5, v5, 2, v5
	v_mul_f64 v[58:59], v[72:73], 0.5
	v_mul_f64 v[42:43], v[72:73], s[0:1]
	v_mul_f64 v[68:69], v[56:57], -0.5
	v_fma_f64 v[18:19], v[64:65], -0.5, v[18:19]
	v_mul_f64 v[66:67], v[54:55], -0.5
	v_mul_f64 v[64:65], v[76:77], -0.5
	v_fma_f64 v[20:21], v[62:63], -0.5, v[20:21]
	v_mul_f64 v[62:63], v[74:75], 0.5
	v_mul_f64 v[70:71], v[74:75], s[0:1]
	v_mul_f64 v[72:73], v[80:81], -0.5
	v_add_f64 v[26:27], v[14:15], v[26:27]
	v_add_f64 v[74:75], v[2:3], v[30:31]
	v_fma_f64 v[84:85], v[36:37], s[0:1], v[22:23]
	v_fma_f64 v[86:87], v[36:37], s[2:3], v[22:23]
	v_add_nc_u32_e32 v3, 24, v48
	v_lshrrev_b16 v2, 10, v4
	v_sub_nc_u32_e32 v4, v53, v5
	v_add_f64 v[10:11], v[12:13], -v[0:1]
	s_delay_alu instid0(VALU_DEP_4) | instskip(NEXT) | instid1(VALU_DEP_4)
	v_and_b32_e32 v34, 0xff, v3
	v_mul_lo_u16 v35, v2, 6
	s_delay_alu instid0(VALU_DEP_4)
	v_mul_u32_u24_e32 v36, 0x120, v4
	v_add_f64 v[4:5], v[0:1], v[12:13]
	v_add_f64 v[12:13], v[28:29], v[8:9]
	v_and_b32_e32 v2, 0xffff, v2
	v_sub_nc_u16 v1, v48, v35
	v_lshlrev_b32_e32 v0, 3, v36
	s_delay_alu instid0(VALU_DEP_3)
	v_mad_u32_u24 v2, 0x120, v2, 0
	v_fma_f64 v[44:45], v[40:41], s[2:3], v[58:59]
	v_fma_f64 v[82:83], v[40:41], 0.5, v[42:43]
	v_fma_f64 v[68:69], v[80:81], s[2:3], v[68:69]
	v_fma_f64 v[80:81], v[24:25], s[0:1], v[18:19]
	v_fma_f64 v[58:59], v[76:77], s[2:3], v[66:67]
	v_fma_f64 v[24:25], v[24:25], s[2:3], v[18:19]
	v_fma_f64 v[64:65], v[54:55], s[0:1], v[64:65]
	v_fma_f64 v[66:67], v[46:47], s[2:3], v[20:21]
	v_fma_f64 v[62:63], v[60:61], s[2:3], v[62:63]
	v_add_f64 v[76:77], v[6:7], v[38:39]
	v_fma_f64 v[70:71], v[60:61], 0.5, v[70:71]
	v_fma_f64 v[46:47], v[46:47], s[0:1], v[20:21]
	v_fma_f64 v[72:73], v[56:57], s[0:1], v[72:73]
	v_add_f64 v[18:19], v[28:29], -v[8:9]
	v_add_f64 v[39:40], v[26:27], -v[74:75]
	v_mul_u32_u24_e32 v28, 6, v48
	v_add_f64 v[6:7], v[32:33], v[44:45]
	v_add_f64 v[20:21], v[32:33], -v[44:45]
	v_mul_lo_u16 v45, 0xab, v34
	v_add_f64 v[33:34], v[74:75], v[26:27]
	v_add_f64 v[35:36], v[80:81], v[82:83]
	;; [unrolled: 1-line block ×4, first 2 shown]
	v_add_f64 v[22:23], v[16:17], -v[58:59]
	v_add_f64 v[57:58], v[80:81], -v[82:83]
	;; [unrolled: 1-line block ×3, first 2 shown]
	v_add_f64 v[14:15], v[66:67], v[62:63]
	v_add_f64 v[41:42], v[76:77], v[78:79]
	;; [unrolled: 1-line block ×4, first 2 shown]
	v_add_f64 v[55:56], v[76:77], -v[78:79]
	v_add_f64 v[53:54], v[86:87], v[72:73]
	v_add_f64 v[29:30], v[66:67], -v[62:63]
	v_add_f64 v[31:32], v[46:47], -v[68:69]
	;; [unrolled: 1-line block ×4, first 2 shown]
	v_and_b32_e32 v47, 0xff, v1
	v_add_nc_u32_e32 v46, 0, v0
	v_lshlrev_b32_e32 v1, 3, v48
	v_lshrrev_b16 v49, 10, v45
	s_delay_alu instid0(VALU_DEP_4) | instskip(NEXT) | instid1(VALU_DEP_4)
	v_mul_u32_u24_e32 v26, 5, v47
	v_lshl_add_u32 v24, v28, 3, v46
	v_lshl_add_u32 v27, v52, 3, v46
	s_delay_alu instid0(VALU_DEP_4)
	v_mul_lo_u16 v65, v49, 6
	ds_store_b128 v24, v[4:7]
	ds_store_b128 v24, v[8:11] offset:16
	ds_store_b128 v24, v[20:23] offset:32
	;; [unrolled: 1-line block ×5, first 2 shown]
	v_mad_i32_i24 v25, 0xffffffd8, v48, v24
	v_lshlrev_b32_e32 v69, 4, v26
	v_add_nc_u32_e32 v26, v46, v1
	s_waitcnt lgkmcnt(0)
	s_barrier
	v_add_nc_u32_e32 v28, 0x400, v25
	buffer_gl0_inv
	ds_load_2addr_b64 v[4:7], v25 offset0:24 offset1:48
	ds_load_b64 v[45:46], v26
	ds_load_b64 v[81:82], v27
	ds_load_2addr_b64 v[8:11], v25 offset0:144 offset1:168
	ds_load_2addr_b64 v[12:15], v25 offset0:192 offset1:216
	;; [unrolled: 1-line block ×4, first 2 shown]
	s_waitcnt lgkmcnt(0)
	s_barrier
	buffer_gl0_inv
	ds_store_b128 v24, v[33:36]
	ds_store_b128 v24, v[37:40] offset:16
	ds_store_b128 v24, v[57:60] offset:32
	;; [unrolled: 1-line block ×5, first 2 shown]
	s_waitcnt lgkmcnt(0)
	s_barrier
	buffer_gl0_inv
	global_load_b128 v[29:32], v69, s[4:5] offset:32
	v_sub_nc_u16 v24, v3, v65
	s_delay_alu instid0(VALU_DEP_1) | instskip(NEXT) | instid1(VALU_DEP_1)
	v_and_b32_e32 v91, 0xff, v24
	v_mul_u32_u24_e32 v24, 5, v91
	s_delay_alu instid0(VALU_DEP_1)
	v_lshlrev_b32_e32 v24, 4, v24
	s_clause 0x8
	global_load_b128 v[33:36], v24, s[4:5] offset:32
	global_load_b128 v[37:40], v69, s[4:5] offset:64
	global_load_b128 v[41:44], v24, s[4:5] offset:64
	global_load_b128 v[53:56], v69, s[4:5]
	global_load_b128 v[57:60], v69, s[4:5] offset:16
	global_load_b128 v[61:64], v24, s[4:5]
	global_load_b128 v[65:68], v24, s[4:5] offset:16
	global_load_b128 v[69:72], v69, s[4:5] offset:48
	;; [unrolled: 1-line block ×3, first 2 shown]
	ds_load_2addr_b64 v[77:80], v25 offset0:144 offset1:168
	s_waitcnt vmcnt(9) lgkmcnt(0)
	v_mul_f64 v[83:84], v[77:78], v[31:32]
	v_mul_f64 v[31:32], v[8:9], v[31:32]
	s_waitcnt vmcnt(8)
	v_mul_f64 v[85:86], v[79:80], v[35:36]
	v_mul_f64 v[35:36], v[10:11], v[35:36]
	s_delay_alu instid0(VALU_DEP_4) | instskip(NEXT) | instid1(VALU_DEP_4)
	v_fma_f64 v[83:84], v[8:9], v[29:30], -v[83:84]
	v_fma_f64 v[77:78], v[77:78], v[29:30], v[31:32]
	ds_load_2addr_b64 v[29:32], v28 offset0:112 offset1:136
	v_fma_f64 v[85:86], v[10:11], v[33:34], -v[85:86]
	v_fma_f64 v[33:34], v[79:80], v[33:34], v[35:36]
	ds_load_2addr_b64 v[8:11], v25 offset0:24 offset1:48
	s_waitcnt vmcnt(7) lgkmcnt(1)
	v_mul_f64 v[87:88], v[29:30], v[39:40]
	v_mul_f64 v[39:40], v[16:17], v[39:40]
	s_waitcnt vmcnt(6)
	v_mul_f64 v[35:36], v[31:32], v[43:44]
	v_mul_f64 v[43:44], v[18:19], v[43:44]
	s_delay_alu instid0(VALU_DEP_4) | instskip(NEXT) | instid1(VALU_DEP_4)
	v_fma_f64 v[79:80], v[16:17], v[37:38], -v[87:88]
	v_fma_f64 v[37:38], v[29:30], v[37:38], v[39:40]
	ds_load_b64 v[29:30], v27
	s_waitcnt vmcnt(5) lgkmcnt(1)
	v_mul_f64 v[39:40], v[10:11], v[55:56]
	v_mul_f64 v[55:56], v[6:7], v[55:56]
	v_fma_f64 v[35:36], v[18:19], v[41:42], -v[35:36]
	v_fma_f64 v[41:42], v[31:32], v[41:42], v[43:44]
	ds_load_2addr_b64 v[16:19], v25 offset0:72 offset1:120
	s_waitcnt vmcnt(4)
	v_mul_f64 v[31:32], v[81:82], v[59:60]
	s_waitcnt lgkmcnt(1)
	v_mul_f64 v[87:88], v[29:30], v[59:60]
	s_waitcnt vmcnt(2)
	v_mul_f64 v[59:60], v[22:23], v[67:68]
	s_waitcnt lgkmcnt(0)
	v_mul_f64 v[43:44], v[16:17], v[63:64]
	v_fma_f64 v[6:7], v[6:7], v[53:54], -v[39:40]
	v_fma_f64 v[10:11], v[10:11], v[53:54], v[55:56]
	v_mul_f64 v[39:40], v[20:21], v[63:64]
	v_mul_f64 v[53:54], v[18:19], v[67:68]
	s_waitcnt vmcnt(0)
	v_mul_f64 v[67:68], v[14:15], v[75:76]
	v_fma_f64 v[55:56], v[81:82], v[57:58], -v[87:88]
	v_fma_f64 v[57:58], v[29:30], v[57:58], v[31:32]
	ds_load_2addr_b64 v[29:32], v25 offset0:192 offset1:216
	v_fma_f64 v[18:19], v[18:19], v[65:66], v[59:60]
	v_add_f64 v[59:60], v[33:34], v[41:42]
	v_fma_f64 v[20:21], v[20:21], v[61:62], -v[43:44]
	v_fma_f64 v[16:17], v[16:17], v[61:62], v[39:40]
	s_waitcnt lgkmcnt(0)
	v_mul_f64 v[63:64], v[29:30], v[71:72]
	v_mul_f64 v[39:40], v[12:13], v[71:72]
	;; [unrolled: 1-line block ×3, first 2 shown]
	v_fma_f64 v[22:23], v[22:23], v[65:66], -v[53:54]
	v_add_f64 v[53:54], v[77:78], v[37:38]
	v_add_f64 v[61:62], v[83:84], v[79:80]
	;; [unrolled: 1-line block ×3, first 2 shown]
	v_fma_f64 v[31:32], v[31:32], v[73:74], v[67:68]
	v_fma_f64 v[59:60], v[59:60], -0.5, v[16:17]
	v_fma_f64 v[12:13], v[12:13], v[69:70], -v[63:64]
	v_fma_f64 v[29:30], v[29:30], v[69:70], v[39:40]
	v_fma_f64 v[14:15], v[14:15], v[73:74], -v[43:44]
	v_add_f64 v[39:40], v[77:78], -v[37:38]
	v_add_f64 v[43:44], v[83:84], -v[79:80]
	v_fma_f64 v[53:54], v[53:54], -0.5, v[10:11]
	v_fma_f64 v[61:62], v[61:62], -0.5, v[6:7]
	v_add_f64 v[63:64], v[33:34], -v[41:42]
	v_fma_f64 v[65:66], v[65:66], -0.5, v[20:21]
	v_add_f64 v[69:70], v[85:86], -v[35:36]
	v_add_f64 v[6:7], v[6:7], v[83:84]
	v_add_f64 v[10:11], v[10:11], v[77:78]
	;; [unrolled: 1-line block ×8, first 2 shown]
	v_add_f64 v[77:78], v[57:58], -v[29:30]
	v_add_f64 v[22:23], v[22:23], -v[14:15]
	v_fma_f64 v[75:76], v[43:44], s[0:1], v[53:54]
	v_fma_f64 v[81:82], v[39:40], s[0:1], v[61:62]
	v_fma_f64 v[39:40], v[39:40], s[2:3], v[61:62]
	v_fma_f64 v[83:84], v[63:64], s[0:1], v[65:66]
	v_fma_f64 v[63:64], v[63:64], s[2:3], v[65:66]
	v_add_f64 v[65:66], v[18:19], v[31:32]
	v_fma_f64 v[43:44], v[43:44], s[2:3], v[53:54]
	v_fma_f64 v[61:62], v[69:70], s[0:1], v[59:60]
	;; [unrolled: 1-line block ×3, first 2 shown]
	v_add_f64 v[69:70], v[45:46], v[55:56]
	ds_load_b64 v[53:54], v26
	v_add_f64 v[55:56], v[55:56], -v[12:13]
	v_add_f64 v[6:7], v[6:7], v[79:80]
	v_add_f64 v[14:15], v[85:86], v[14:15]
	;; [unrolled: 1-line block ×3, first 2 shown]
	v_mov_b32_e32 v20, 0
	v_add_f64 v[10:11], v[10:11], v[37:38]
	v_add_f64 v[16:17], v[16:17], v[41:42]
	s_waitcnt lgkmcnt(0)
	s_barrier
	buffer_gl0_inv
	v_add_f64 v[57:58], v[53:54], v[57:58]
	v_fma_f64 v[45:46], v[67:68], -0.5, v[45:46]
	v_add_f64 v[67:68], v[18:19], -v[31:32]
	v_fma_f64 v[4:5], v[73:74], -0.5, v[4:5]
	v_fma_f64 v[33:34], v[71:72], -0.5, v[53:54]
	v_add_f64 v[18:19], v[8:9], v[18:19]
	v_mul_f64 v[73:74], v[75:76], s[2:3]
	v_mul_f64 v[87:88], v[81:82], -0.5
	v_mul_f64 v[71:72], v[83:84], -0.5
	v_fma_f64 v[8:9], v[65:66], -0.5, v[8:9]
	v_mul_f64 v[65:66], v[39:40], s[0:1]
	v_mul_f64 v[89:90], v[43:44], -0.5
	v_mul_f64 v[53:54], v[61:62], s[2:3]
	v_add_f64 v[12:13], v[69:70], v[12:13]
	v_mul_f64 v[69:70], v[63:64], s[0:1]
	v_mul_f64 v[79:80], v[59:60], -0.5
	v_add_f64 v[29:30], v[57:58], v[29:30]
	v_fma_f64 v[85:86], v[77:78], s[2:3], v[45:46]
	v_fma_f64 v[45:46], v[77:78], s[0:1], v[45:46]
	;; [unrolled: 1-line block ×4, first 2 shown]
	v_fma_f64 v[39:40], v[39:40], 0.5, v[73:74]
	v_fma_f64 v[73:74], v[67:68], s[2:3], v[4:5]
	v_fma_f64 v[4:5], v[67:68], s[0:1], v[4:5]
	;; [unrolled: 1-line block ×4, first 2 shown]
	v_add_f64 v[31:32], v[18:19], v[31:32]
	v_fma_f64 v[41:42], v[75:76], 0.5, v[65:66]
	v_fma_f64 v[55:56], v[81:82], s[0:1], v[89:90]
	v_fma_f64 v[53:54], v[63:64], 0.5, v[53:54]
	v_fma_f64 v[57:58], v[22:23], s[0:1], v[8:9]
	v_fma_f64 v[8:9], v[22:23], s[2:3], v[8:9]
	v_fma_f64 v[21:22], v[61:62], 0.5, v[69:70]
	v_fma_f64 v[23:24], v[83:84], s[0:1], v[79:80]
	v_add_nc_u32_e32 v18, -12, v48
	v_cmp_gt_u32_e64 s0, 12, v48
	v_add_f64 v[61:62], v[12:13], v[6:7]
	v_add_f64 v[6:7], v[12:13], -v[6:7]
	v_add_f64 v[12:13], v[14:15], v[35:36]
	v_add_f64 v[14:15], v[14:15], -v[35:36]
	v_cndmask_b32_e64 v87, v18, v3, s0
	s_delay_alu instid0(VALU_DEP_1) | instskip(NEXT) | instid1(VALU_DEP_1)
	v_mul_i32_i24_e32 v19, 3, v87
	v_lshlrev_b64 v[18:19], 4, v[19:20]
	s_delay_alu instid0(VALU_DEP_1) | instskip(NEXT) | instid1(VALU_DEP_1)
	v_add_co_u32 v18, s0, s4, v18
	v_add_co_ci_u32_e64 v19, s0, s5, v19, s0
	v_add_f64 v[35:36], v[85:86], v[39:40]
	v_add_f64 v[39:40], v[85:86], -v[39:40]
	v_add_f64 v[65:66], v[4:5], v[59:60]
	v_add_f64 v[3:4], v[4:5], -v[59:60]
	v_add_f64 v[59:60], v[29:30], v[10:11]
	v_add_f64 v[69:70], v[37:38], v[41:42]
	;; [unrolled: 1-line block ×3, first 2 shown]
	v_add_f64 v[29:30], v[29:30], -v[10:11]
	v_add_f64 v[71:72], v[33:34], v[55:56]
	v_add_f64 v[43:44], v[45:46], -v[43:44]
	v_add_f64 v[37:38], v[37:38], -v[41:42]
	;; [unrolled: 1-line block ×3, first 2 shown]
	v_add_f64 v[45:46], v[73:74], v[53:54]
	v_add_f64 v[67:68], v[31:32], v[16:17]
	;; [unrolled: 1-line block ×3, first 2 shown]
	v_add_f64 v[31:32], v[31:32], -v[16:17]
	v_add_f64 v[55:56], v[8:9], v[23:24]
	v_add_f64 v[53:54], v[73:74], -v[53:54]
	v_add_f64 v[57:58], v[57:58], -v[21:22]
	v_add_f64 v[73:74], v[8:9], -v[23:24]
	v_and_b32_e32 v5, 0xffff, v49
	v_lshlrev_b32_e32 v8, 3, v47
	v_lshlrev_b32_e32 v9, 3, v91
	v_cmp_lt_u32_e64 s0, 11, v48
	s_delay_alu instid0(VALU_DEP_4) | instskip(NEXT) | instid1(VALU_DEP_4)
	v_mad_u32_u24 v5, 0x120, v5, 0
	v_add3_u32 v47, v2, v8, v0
	s_delay_alu instid0(VALU_DEP_2)
	v_add3_u32 v49, v5, v9, v0
	ds_store_2addr_b64 v47, v[61:62], v[35:36] offset1:6
	ds_store_2addr_b64 v47, v[63:64], v[6:7] offset0:12 offset1:18
	ds_store_2addr_b64 v47, v[39:40], v[43:44] offset0:24 offset1:30
	ds_store_2addr_b64 v49, v[12:13], v[45:46] offset1:6
	ds_store_2addr_b64 v49, v[65:66], v[14:15] offset0:12 offset1:18
	ds_store_2addr_b64 v49, v[53:54], v[3:4] offset0:24 offset1:30
	s_waitcnt lgkmcnt(0)
	s_barrier
	buffer_gl0_inv
	ds_load_2addr_b64 v[2:5], v25 offset0:72 offset1:120
	ds_load_2addr_b64 v[6:9], v25 offset0:144 offset1:168
	;; [unrolled: 1-line block ×4, first 2 shown]
	ds_load_b64 v[45:46], v26
	ds_load_b64 v[81:82], v27
	ds_load_2addr_b64 v[21:24], v28 offset0:112 offset1:136
	s_waitcnt lgkmcnt(0)
	s_barrier
	buffer_gl0_inv
	ds_store_2addr_b64 v47, v[59:60], v[69:70] offset1:6
	ds_store_2addr_b64 v47, v[71:72], v[29:30] offset0:12 offset1:18
	ds_store_2addr_b64 v47, v[37:38], v[33:34] offset0:24 offset1:30
	ds_store_2addr_b64 v49, v[67:68], v[41:42] offset1:6
	ds_store_2addr_b64 v49, v[55:56], v[31:32] offset0:12 offset1:18
	ds_store_2addr_b64 v49, v[57:58], v[73:74] offset0:24 offset1:30
	s_waitcnt lgkmcnt(0)
	s_barrier
	buffer_gl0_inv
	global_load_b128 v[29:32], v[18:19], off offset:480
	v_mul_u32_u24_e32 v33, 3, v48
	v_lshlrev_b32_e32 v49, 3, v87
	s_delay_alu instid0(VALU_DEP_2)
	v_lshlrev_b32_e32 v47, 4, v33
	s_clause 0x7
	global_load_b128 v[33:36], v47, s[4:5] offset:480
	global_load_b128 v[37:40], v47, s[4:5] offset:496
	;; [unrolled: 1-line block ×3, first 2 shown]
	global_load_b128 v[53:56], v[18:19], off offset:496
	global_load_b128 v[57:60], v47, s[4:5] offset:1056
	global_load_b128 v[61:64], v47, s[4:5] offset:1072
	global_load_b128 v[65:68], v[18:19], off offset:512
	global_load_b128 v[69:72], v47, s[4:5] offset:1088
	ds_load_b64 v[18:19], v27
	ds_load_2addr_b64 v[73:76], v25 offset0:72 offset1:120
	ds_load_2addr_b64 v[77:80], v25 offset0:144 offset1:168
	s_waitcnt vmcnt(8) lgkmcnt(2)
	v_mul_f64 v[83:84], v[18:19], v[31:32]
	v_mul_f64 v[31:32], v[81:82], v[31:32]
	s_waitcnt vmcnt(7) lgkmcnt(1)
	v_mul_f64 v[85:86], v[73:74], v[35:36]
	v_mul_f64 v[35:36], v[2:3], v[35:36]
	s_delay_alu instid0(VALU_DEP_4)
	v_fma_f64 v[81:82], v[81:82], v[29:30], -v[83:84]
	s_waitcnt vmcnt(6) lgkmcnt(0)
	v_mul_f64 v[83:84], v[77:78], v[39:40]
	v_fma_f64 v[18:19], v[18:19], v[29:30], v[31:32]
	ds_load_2addr_b64 v[29:32], v25 offset0:192 offset1:216
	v_mul_f64 v[39:40], v[6:7], v[39:40]
	v_fma_f64 v[85:86], v[2:3], v[33:34], -v[85:86]
	v_fma_f64 v[33:34], v[73:74], v[33:34], v[35:36]
	s_waitcnt vmcnt(5)
	v_mul_f64 v[35:36], v[12:13], v[43:44]
	s_waitcnt lgkmcnt(0)
	v_mul_f64 v[2:3], v[31:32], v[43:44]
	v_fma_f64 v[43:44], v[6:7], v[37:38], -v[83:84]
	s_waitcnt vmcnt(4)
	v_mul_f64 v[6:7], v[79:80], v[55:56]
	v_fma_f64 v[37:38], v[77:78], v[37:38], v[39:40]
	s_waitcnt vmcnt(3)
	v_mul_f64 v[39:40], v[75:76], v[59:60]
	v_fma_f64 v[2:3], v[12:13], v[41:42], -v[2:3]
	v_fma_f64 v[12:13], v[31:32], v[41:42], v[35:36]
	v_mul_f64 v[35:36], v[8:9], v[55:56]
	s_waitcnt vmcnt(2)
	v_mul_f64 v[31:32], v[29:30], v[63:64]
	v_fma_f64 v[41:42], v[8:9], v[53:54], -v[6:7]
	ds_load_2addr_b64 v[6:9], v28 offset0:112 offset1:136
	v_fma_f64 v[39:40], v[4:5], v[57:58], -v[39:40]
	v_mul_f64 v[4:5], v[4:5], v[59:60]
	s_waitcnt vmcnt(1) lgkmcnt(0)
	v_mul_f64 v[55:56], v[6:7], v[67:68]
	s_waitcnt vmcnt(0)
	v_mul_f64 v[59:60], v[8:9], v[71:72]
	v_fma_f64 v[35:36], v[79:80], v[53:54], v[35:36]
	v_fma_f64 v[31:32], v[10:11], v[61:62], -v[31:32]
	v_mul_f64 v[10:11], v[10:11], v[63:64]
	v_add_f64 v[12:13], v[33:34], -v[12:13]
	v_add_f64 v[41:42], v[14:15], -v[41:42]
	v_fma_f64 v[55:56], v[21:22], v[65:66], -v[55:56]
	v_mul_f64 v[21:22], v[21:22], v[67:68]
	v_fma_f64 v[59:60], v[23:24], v[69:70], -v[59:60]
	v_mul_f64 v[23:24], v[23:24], v[71:72]
	v_fma_f64 v[10:11], v[29:30], v[61:62], v[10:11]
	v_add_f64 v[29:30], v[85:86], -v[2:3]
	v_add_f64 v[31:32], v[16:17], -v[31:32]
	v_fma_f64 v[33:34], v[33:34], 2.0, -v[12:13]
	v_add3_u32 v67, 0, v1, v0
	v_fma_f64 v[14:15], v[14:15], 2.0, -v[41:42]
	v_fma_f64 v[6:7], v[6:7], v[65:66], v[21:22]
	v_fma_f64 v[21:22], v[75:76], v[57:58], v[4:5]
	;; [unrolled: 1-line block ×3, first 2 shown]
	v_add_f64 v[23:24], v[45:46], -v[43:44]
	v_add_f64 v[43:44], v[81:82], -v[55:56]
	;; [unrolled: 1-line block ×3, first 2 shown]
	ds_load_b64 v[55:56], v26
	ds_load_2addr_b64 v[2:5], v25 offset0:24 offset1:48
	v_fma_f64 v[57:58], v[85:86], 2.0, -v[29:30]
	v_fma_f64 v[16:17], v[16:17], 2.0, -v[31:32]
	s_waitcnt lgkmcnt(0)
	s_barrier
	buffer_gl0_inv
	v_add_f64 v[37:38], v[55:56], -v[37:38]
	v_add_f64 v[35:36], v[2:3], -v[35:36]
	;; [unrolled: 1-line block ×5, first 2 shown]
	v_fma_f64 v[45:46], v[45:46], 2.0, -v[23:24]
	v_fma_f64 v[59:60], v[81:82], 2.0, -v[43:44]
	;; [unrolled: 1-line block ×3, first 2 shown]
	v_add_f64 v[12:13], v[23:24], -v[12:13]
	v_fma_f64 v[55:56], v[55:56], 2.0, -v[37:38]
	v_fma_f64 v[2:3], v[2:3], 2.0, -v[35:36]
	v_fma_f64 v[4:5], v[4:5], 2.0, -v[10:11]
	v_add_f64 v[29:30], v[37:38], v[29:30]
	v_add_f64 v[43:44], v[35:36], v[43:44]
	;; [unrolled: 1-line block ×3, first 2 shown]
	v_fma_f64 v[18:19], v[18:19], 2.0, -v[6:7]
	v_add_f64 v[6:7], v[41:42], -v[6:7]
	v_fma_f64 v[21:22], v[21:22], 2.0, -v[8:9]
	v_add_f64 v[57:58], v[45:46], -v[57:58]
	v_add_f64 v[59:60], v[14:15], -v[59:60]
	;; [unrolled: 1-line block ×5, first 2 shown]
	v_fma_f64 v[37:38], v[37:38], 2.0, -v[29:30]
	v_fma_f64 v[35:36], v[35:36], 2.0, -v[43:44]
	v_add_f64 v[61:62], v[2:3], -v[18:19]
	v_fma_f64 v[18:19], v[23:24], 2.0, -v[12:13]
	v_add_f64 v[63:64], v[4:5], -v[21:22]
	v_fma_f64 v[23:24], v[45:46], 2.0, -v[57:58]
	v_fma_f64 v[21:22], v[41:42], 2.0, -v[6:7]
	;; [unrolled: 1-line block ×5, first 2 shown]
	v_cndmask_b32_e64 v41, 0, 0x480, s0
	s_delay_alu instid0(VALU_DEP_1) | instskip(NEXT) | instid1(VALU_DEP_1)
	v_add_nc_u32_e32 v47, 0, v41
	v_add3_u32 v47, v47, v49, v0
	v_add_nc_u32_e32 v49, 0x400, v67
	ds_store_2addr_b64 v25, v[57:58], v[12:13] offset0:72 offset1:108
	ds_store_2addr_b64 v25, v[23:24], v[18:19] offset1:36
	ds_store_2addr_b64 v47, v[14:15], v[21:22] offset1:36
	ds_store_2addr_b64 v47, v[59:60], v[6:7] offset0:72 offset1:108
	ds_store_2addr_b64 v67, v[16:17], v[31:32] offset0:156 offset1:192
	;; [unrolled: 1-line block ×3, first 2 shown]
	v_fma_f64 v[41:42], v[55:56], 2.0, -v[33:34]
	v_fma_f64 v[45:46], v[2:3], 2.0, -v[61:62]
	;; [unrolled: 1-line block ×4, first 2 shown]
	s_waitcnt lgkmcnt(0)
	s_barrier
	buffer_gl0_inv
	ds_load_2addr_b64 v[8:11], v25 offset0:144 offset1:168
	ds_load_2addr_b64 v[0:3], v25 offset0:24 offset1:48
	;; [unrolled: 1-line block ×4, first 2 shown]
	ds_load_b64 v[23:24], v26
	ds_load_b64 v[21:22], v27
	ds_load_2addr_b64 v[12:15], v28 offset0:112 offset1:136
	s_waitcnt lgkmcnt(0)
	s_barrier
	buffer_gl0_inv
	ds_store_2addr_b64 v25, v[41:42], v[37:38] offset1:36
	ds_store_2addr_b64 v25, v[33:34], v[29:30] offset0:72 offset1:108
	ds_store_2addr_b64 v47, v[45:46], v[35:36] offset1:36
	ds_store_2addr_b64 v47, v[61:62], v[43:44] offset0:72 offset1:108
	ds_store_2addr_b64 v67, v[65:66], v[55:56] offset0:156 offset1:192
	;; [unrolled: 1-line block ×3, first 2 shown]
	s_waitcnt lgkmcnt(0)
	s_barrier
	buffer_gl0_inv
	s_and_saveexec_b32 s0, vcc_lo
	s_cbranch_execz .LBB0_14
; %bb.13:
	v_mov_b32_e32 v49, v20
	v_mov_b32_e32 v53, v20
	s_delay_alu instid0(VALU_DEP_2) | instskip(NEXT) | instid1(VALU_DEP_2)
	v_lshlrev_b64 v[72:73], 4, v[48:49]
	v_lshlrev_b64 v[45:46], 4, v[52:53]
	s_delay_alu instid0(VALU_DEP_2) | instskip(NEXT) | instid1(VALU_DEP_3)
	v_add_co_u32 v41, vcc_lo, s4, v72
	v_add_co_ci_u32_e32 v42, vcc_lo, s5, v73, vcc_lo
	s_delay_alu instid0(VALU_DEP_2)
	v_add_co_u32 v52, vcc_lo, 0x1000, v41
	global_load_b128 v[29:32], v[41:42], off offset:3360
	v_add_co_ci_u32_e32 v53, vcc_lo, 0, v42, vcc_lo
	v_add_co_u32 v45, vcc_lo, s4, v45
	s_clause 0x2
	global_load_b128 v[33:36], v[41:42], off offset:2976
	global_load_b128 v[37:40], v[41:42], off offset:2592
	;; [unrolled: 1-line block ×3, first 2 shown]
	v_add_co_ci_u32_e32 v46, vcc_lo, s5, v46, vcc_lo
	s_clause 0x1
	global_load_b128 v[52:55], v[52:53], off offset:32
	global_load_b128 v[56:59], v[45:46], off offset:2208
	ds_load_2addr_b64 v[60:63], v25 offset0:192 offset1:216
	ds_load_2addr_b64 v[64:67], v25 offset0:144 offset1:168
	;; [unrolled: 1-line block ×3, first 2 shown]
	s_waitcnt vmcnt(5)
	v_mul_f64 v[45:46], v[18:19], v[31:32]
	s_waitcnt lgkmcnt(2)
	v_mul_f64 v[31:32], v[62:63], v[31:32]
	s_waitcnt vmcnt(4)
	v_mul_f64 v[74:75], v[16:17], v[35:36]
	v_mul_f64 v[35:36], v[60:61], v[35:36]
	s_waitcnt vmcnt(2)
	v_mul_f64 v[78:79], v[8:9], v[43:44]
	s_waitcnt lgkmcnt(1)
	v_mul_f64 v[43:44], v[64:65], v[43:44]
	v_mul_f64 v[76:77], v[10:11], v[39:40]
	;; [unrolled: 1-line block ×3, first 2 shown]
	s_waitcnt vmcnt(1)
	v_mul_f64 v[80:81], v[14:15], v[54:55]
	s_waitcnt lgkmcnt(0)
	v_mul_f64 v[54:55], v[70:71], v[54:55]
	v_fma_f64 v[45:46], v[62:63], v[29:30], v[45:46]
	v_fma_f64 v[18:19], v[18:19], v[29:30], -v[31:32]
	s_waitcnt vmcnt(0)
	v_mul_f64 v[28:29], v[12:13], v[58:59]
	v_mul_f64 v[30:31], v[68:69], v[58:59]
	v_fma_f64 v[58:59], v[60:61], v[33:34], v[74:75]
	v_fma_f64 v[60:61], v[64:65], v[41:42], v[78:79]
	v_fma_f64 v[41:42], v[8:9], v[41:42], -v[43:44]
	v_fma_f64 v[16:17], v[16:17], v[33:34], -v[35:36]
	v_fma_f64 v[33:34], v[66:67], v[37:38], v[76:77]
	v_fma_f64 v[43:44], v[10:11], v[37:38], -v[39:40]
	v_fma_f64 v[62:63], v[70:71], v[52:53], v[80:81]
	;; [unrolled: 2-line block ×3, first 2 shown]
	v_fma_f64 v[56:57], v[12:13], v[56:57], -v[30:31]
	ds_load_2addr_b64 v[8:11], v25 offset0:72 offset1:120
	ds_load_2addr_b64 v[12:15], v25 offset0:24 offset1:48
	ds_load_b64 v[64:65], v26
	ds_load_b64 v[66:67], v27
	v_add_f64 v[25:26], v[4:5], -v[18:19]
	v_add_f64 v[37:38], v[23:24], -v[41:42]
	;; [unrolled: 1-line block ×3, first 2 shown]
	v_add_nc_u32_e32 v16, 0x78, v48
	v_add_f64 v[41:42], v[6:7], -v[52:53]
	s_delay_alu instid0(VALU_DEP_2)
	v_mul_hi_u32 v16, 0x38e38e39, v16
	s_waitcnt lgkmcnt(3)
	v_add_f64 v[27:28], v[8:9], -v[45:46]
	s_waitcnt lgkmcnt(2)
	v_add_f64 v[31:32], v[14:15], -v[58:59]
	;; [unrolled: 2-line block ×3, first 2 shown]
	v_add_f64 v[35:36], v[12:13], -v[33:34]
	v_add_f64 v[33:34], v[0:1], -v[43:44]
	;; [unrolled: 1-line block ×3, first 2 shown]
	s_waitcnt lgkmcnt(0)
	v_add_f64 v[54:55], v[66:67], -v[54:55]
	v_add_f64 v[52:53], v[21:22], -v[56:57]
	v_fma_f64 v[45:46], v[4:5], 2.0, -v[25:26]
	v_fma_f64 v[56:57], v[23:24], 2.0, -v[37:38]
	;; [unrolled: 1-line block ×10, first 2 shown]
	v_lshrrev_b32_e32 v0, 5, v16
	v_add_co_u32 v10, vcc_lo, s8, v50
	v_add_co_ci_u32_e32 v11, vcc_lo, s9, v51, vcc_lo
	s_delay_alu instid0(VALU_DEP_3) | instskip(NEXT) | instid1(VALU_DEP_3)
	v_mul_lo_u32 v19, 0x90, v0
	v_add_co_u32 v10, vcc_lo, v10, v72
	s_delay_alu instid0(VALU_DEP_3) | instskip(NEXT) | instid1(VALU_DEP_3)
	v_add_co_ci_u32_e32 v11, vcc_lo, v11, v73, vcc_lo
	v_lshlrev_b64 v[0:1], 4, v[19:20]
	v_fma_f64 v[23:24], v[66:67], 2.0, -v[54:55]
	v_fma_f64 v[21:22], v[21:22], 2.0, -v[52:53]
	s_delay_alu instid0(VALU_DEP_3) | instskip(NEXT) | instid1(VALU_DEP_4)
	v_add_co_u32 v0, vcc_lo, v10, v0
	v_add_co_ci_u32_e32 v1, vcc_lo, v11, v1, vcc_lo
	s_delay_alu instid0(VALU_DEP_2) | instskip(NEXT) | instid1(VALU_DEP_2)
	v_add_co_u32 v16, vcc_lo, 0x780, v0
	v_add_co_ci_u32_e32 v17, vcc_lo, 0, v1, vcc_lo
	s_clause 0xb
	global_store_b128 v[10:11], v[33:36], off offset:2688
	global_store_b128 v[10:11], v[29:32], off offset:3072
	;; [unrolled: 1-line block ×4, first 2 shown]
	global_store_b128 v[10:11], v[56:59], off
	global_store_b128 v[10:11], v[12:15], off offset:384
	global_store_b128 v[10:11], v[2:5], off offset:768
	;; [unrolled: 1-line block ×7, first 2 shown]
.LBB0_14:
	s_nop 0
	s_sendmsg sendmsg(MSG_DEALLOC_VGPRS)
	s_endpgm
	.section	.rodata,"a",@progbits
	.p2align	6, 0x0
	.amdhsa_kernel fft_rtc_fwd_len288_factors_6_6_4_2_wgs_120_tpt_24_halfLds_dp_ip_CI_unitstride_sbrr_dirReg
		.amdhsa_group_segment_fixed_size 0
		.amdhsa_private_segment_fixed_size 0
		.amdhsa_kernarg_size 88
		.amdhsa_user_sgpr_count 15
		.amdhsa_user_sgpr_dispatch_ptr 0
		.amdhsa_user_sgpr_queue_ptr 0
		.amdhsa_user_sgpr_kernarg_segment_ptr 1
		.amdhsa_user_sgpr_dispatch_id 0
		.amdhsa_user_sgpr_private_segment_size 0
		.amdhsa_wavefront_size32 1
		.amdhsa_uses_dynamic_stack 0
		.amdhsa_enable_private_segment 0
		.amdhsa_system_sgpr_workgroup_id_x 1
		.amdhsa_system_sgpr_workgroup_id_y 0
		.amdhsa_system_sgpr_workgroup_id_z 0
		.amdhsa_system_sgpr_workgroup_info 0
		.amdhsa_system_vgpr_workitem_id 0
		.amdhsa_next_free_vgpr 92
		.amdhsa_next_free_sgpr 21
		.amdhsa_reserve_vcc 1
		.amdhsa_float_round_mode_32 0
		.amdhsa_float_round_mode_16_64 0
		.amdhsa_float_denorm_mode_32 3
		.amdhsa_float_denorm_mode_16_64 3
		.amdhsa_dx10_clamp 1
		.amdhsa_ieee_mode 1
		.amdhsa_fp16_overflow 0
		.amdhsa_workgroup_processor_mode 1
		.amdhsa_memory_ordered 1
		.amdhsa_forward_progress 0
		.amdhsa_shared_vgpr_count 0
		.amdhsa_exception_fp_ieee_invalid_op 0
		.amdhsa_exception_fp_denorm_src 0
		.amdhsa_exception_fp_ieee_div_zero 0
		.amdhsa_exception_fp_ieee_overflow 0
		.amdhsa_exception_fp_ieee_underflow 0
		.amdhsa_exception_fp_ieee_inexact 0
		.amdhsa_exception_int_div_zero 0
	.end_amdhsa_kernel
	.text
.Lfunc_end0:
	.size	fft_rtc_fwd_len288_factors_6_6_4_2_wgs_120_tpt_24_halfLds_dp_ip_CI_unitstride_sbrr_dirReg, .Lfunc_end0-fft_rtc_fwd_len288_factors_6_6_4_2_wgs_120_tpt_24_halfLds_dp_ip_CI_unitstride_sbrr_dirReg
                                        ; -- End function
	.section	.AMDGPU.csdata,"",@progbits
; Kernel info:
; codeLenInByte = 6444
; NumSgprs: 23
; NumVgprs: 92
; ScratchSize: 0
; MemoryBound: 1
; FloatMode: 240
; IeeeMode: 1
; LDSByteSize: 0 bytes/workgroup (compile time only)
; SGPRBlocks: 2
; VGPRBlocks: 11
; NumSGPRsForWavesPerEU: 23
; NumVGPRsForWavesPerEU: 92
; Occupancy: 16
; WaveLimiterHint : 1
; COMPUTE_PGM_RSRC2:SCRATCH_EN: 0
; COMPUTE_PGM_RSRC2:USER_SGPR: 15
; COMPUTE_PGM_RSRC2:TRAP_HANDLER: 0
; COMPUTE_PGM_RSRC2:TGID_X_EN: 1
; COMPUTE_PGM_RSRC2:TGID_Y_EN: 0
; COMPUTE_PGM_RSRC2:TGID_Z_EN: 0
; COMPUTE_PGM_RSRC2:TIDIG_COMP_CNT: 0
	.text
	.p2alignl 7, 3214868480
	.fill 96, 4, 3214868480
	.type	__hip_cuid_e1a716c3b465b704,@object ; @__hip_cuid_e1a716c3b465b704
	.section	.bss,"aw",@nobits
	.globl	__hip_cuid_e1a716c3b465b704
__hip_cuid_e1a716c3b465b704:
	.byte	0                               ; 0x0
	.size	__hip_cuid_e1a716c3b465b704, 1

	.ident	"AMD clang version 19.0.0git (https://github.com/RadeonOpenCompute/llvm-project roc-6.4.0 25133 c7fe45cf4b819c5991fe208aaa96edf142730f1d)"
	.section	".note.GNU-stack","",@progbits
	.addrsig
	.addrsig_sym __hip_cuid_e1a716c3b465b704
	.amdgpu_metadata
---
amdhsa.kernels:
  - .args:
      - .actual_access:  read_only
        .address_space:  global
        .offset:         0
        .size:           8
        .value_kind:     global_buffer
      - .offset:         8
        .size:           8
        .value_kind:     by_value
      - .actual_access:  read_only
        .address_space:  global
        .offset:         16
        .size:           8
        .value_kind:     global_buffer
      - .actual_access:  read_only
        .address_space:  global
        .offset:         24
        .size:           8
        .value_kind:     global_buffer
      - .offset:         32
        .size:           8
        .value_kind:     by_value
      - .actual_access:  read_only
        .address_space:  global
        .offset:         40
        .size:           8
        .value_kind:     global_buffer
      - .actual_access:  read_only
        .address_space:  global
        .offset:         48
        .size:           8
        .value_kind:     global_buffer
      - .offset:         56
        .size:           4
        .value_kind:     by_value
      - .actual_access:  read_only
        .address_space:  global
        .offset:         64
        .size:           8
        .value_kind:     global_buffer
      - .actual_access:  read_only
        .address_space:  global
        .offset:         72
        .size:           8
        .value_kind:     global_buffer
      - .address_space:  global
        .offset:         80
        .size:           8
        .value_kind:     global_buffer
    .group_segment_fixed_size: 0
    .kernarg_segment_align: 8
    .kernarg_segment_size: 88
    .language:       OpenCL C
    .language_version:
      - 2
      - 0
    .max_flat_workgroup_size: 120
    .name:           fft_rtc_fwd_len288_factors_6_6_4_2_wgs_120_tpt_24_halfLds_dp_ip_CI_unitstride_sbrr_dirReg
    .private_segment_fixed_size: 0
    .sgpr_count:     23
    .sgpr_spill_count: 0
    .symbol:         fft_rtc_fwd_len288_factors_6_6_4_2_wgs_120_tpt_24_halfLds_dp_ip_CI_unitstride_sbrr_dirReg.kd
    .uniform_work_group_size: 1
    .uses_dynamic_stack: false
    .vgpr_count:     92
    .vgpr_spill_count: 0
    .wavefront_size: 32
    .workgroup_processor_mode: 1
amdhsa.target:   amdgcn-amd-amdhsa--gfx1100
amdhsa.version:
  - 1
  - 2
...

	.end_amdgpu_metadata
